;; amdgpu-corpus repo=ROCm/rocFFT kind=compiled arch=gfx1030 opt=O3
	.text
	.amdgcn_target "amdgcn-amd-amdhsa--gfx1030"
	.amdhsa_code_object_version 6
	.protected	fft_rtc_back_len336_factors_6_7_8_wgs_336_tpt_56_dp_ip_CI_sbcc_twdbase8_3step ; -- Begin function fft_rtc_back_len336_factors_6_7_8_wgs_336_tpt_56_dp_ip_CI_sbcc_twdbase8_3step
	.globl	fft_rtc_back_len336_factors_6_7_8_wgs_336_tpt_56_dp_ip_CI_sbcc_twdbase8_3step
	.p2align	8
	.type	fft_rtc_back_len336_factors_6_7_8_wgs_336_tpt_56_dp_ip_CI_sbcc_twdbase8_3step,@function
fft_rtc_back_len336_factors_6_7_8_wgs_336_tpt_56_dp_ip_CI_sbcc_twdbase8_3step: ; @fft_rtc_back_len336_factors_6_7_8_wgs_336_tpt_56_dp_ip_CI_sbcc_twdbase8_3step
; %bb.0:
	s_load_dwordx4 s[12:15], s[4:5], 0x18
	s_mov_b64 s[22:23], 0
	s_waitcnt lgkmcnt(0)
	s_load_dwordx2 s[18:19], s[12:13], 0x8
	s_waitcnt lgkmcnt(0)
	s_add_u32 s0, s18, -1
	s_addc_u32 s1, s19, -1
	s_add_u32 s2, 0, 0xaaa80000
	s_addc_u32 s3, 0, 0xaa
	s_mul_hi_u32 s8, s2, -6
	s_add_i32 s3, s3, 0x2aaaaa00
	s_sub_i32 s8, s8, s2
	s_mul_i32 s10, s3, -6
	s_mul_i32 s7, s2, -6
	s_add_i32 s8, s8, s10
	s_mul_hi_u32 s9, s2, s7
	s_mul_i32 s16, s2, s8
	s_mul_hi_u32 s10, s2, s8
	s_mul_hi_u32 s11, s3, s7
	s_mul_i32 s7, s3, s7
	s_add_u32 s9, s9, s16
	s_addc_u32 s10, 0, s10
	s_mul_hi_u32 s17, s3, s8
	s_add_u32 s7, s9, s7
	s_mul_i32 s8, s3, s8
	s_addc_u32 s7, s10, s11
	s_addc_u32 s9, s17, 0
	s_add_u32 s7, s7, s8
	v_add_co_u32 v1, s2, s2, s7
	s_addc_u32 s7, 0, s9
	s_cmp_lg_u32 s2, 0
	s_addc_u32 s2, s3, s7
	v_readfirstlane_b32 s3, v1
	s_mul_i32 s8, s0, s2
	s_mul_hi_u32 s7, s0, s2
	s_mul_hi_u32 s9, s1, s2
	s_mul_i32 s2, s1, s2
	s_mul_hi_u32 s10, s0, s3
	s_mul_hi_u32 s11, s1, s3
	s_mul_i32 s3, s1, s3
	s_add_u32 s8, s10, s8
	s_addc_u32 s7, 0, s7
	s_add_u32 s3, s8, s3
	s_addc_u32 s3, s7, s11
	s_addc_u32 s7, s9, 0
	s_add_u32 s2, s3, s2
	s_addc_u32 s3, 0, s7
	s_mul_i32 s8, s2, 6
	s_add_u32 s7, s2, 1
	v_sub_co_u32 v1, s0, s0, s8
	s_mul_hi_u32 s8, s2, 6
	s_addc_u32 s9, s3, 0
	s_mul_i32 s10, s3, 6
	v_sub_co_u32 v2, s11, v1, 6
	s_add_u32 s16, s2, 2
	s_addc_u32 s17, s3, 0
	s_add_i32 s8, s8, s10
	s_cmp_lg_u32 s0, 0
	v_readfirstlane_b32 s0, v2
	s_subb_u32 s1, s1, s8
	s_cmp_lg_u32 s11, 0
	s_subb_u32 s8, s1, 0
	s_cmp_gt_u32 s0, 5
	s_cselect_b32 s0, -1, 0
	s_cmp_eq_u32 s8, 0
	v_readfirstlane_b32 s8, v1
	s_cselect_b32 s0, s0, -1
	s_cmp_lg_u32 s0, 0
	s_cselect_b32 s0, s16, s7
	s_cselect_b32 s9, s17, s9
	s_cmp_gt_u32 s8, 5
	s_cselect_b32 s7, -1, 0
	s_cmp_eq_u32 s1, 0
	s_cselect_b32 s1, s7, -1
	s_mov_b32 s7, 0
	s_cmp_lg_u32 s1, 0
	s_cselect_b32 s0, s0, s2
	s_cselect_b32 s1, s9, s3
	s_add_u32 s20, s0, 1
	s_addc_u32 s21, s1, 0
	v_cmp_lt_u64_e64 s0, s[6:7], s[20:21]
	s_and_b32 vcc_lo, exec_lo, s0
	s_cbranch_vccnz .LBB0_2
; %bb.1:
	v_cvt_f32_u32_e32 v1, s20
	s_sub_i32 s1, 0, s20
	s_mov_b32 s23, s7
	v_rcp_iflag_f32_e32 v1, v1
	v_mul_f32_e32 v1, 0x4f7ffffe, v1
	v_cvt_u32_f32_e32 v1, v1
	v_readfirstlane_b32 s0, v1
	s_mul_i32 s1, s1, s0
	s_mul_hi_u32 s1, s0, s1
	s_add_i32 s0, s0, s1
	s_mul_hi_u32 s0, s6, s0
	s_mul_i32 s1, s0, s20
	s_add_i32 s2, s0, 1
	s_sub_i32 s1, s6, s1
	s_sub_i32 s3, s1, s20
	s_cmp_ge_u32 s1, s20
	s_cselect_b32 s0, s2, s0
	s_cselect_b32 s1, s3, s1
	s_add_i32 s2, s0, 1
	s_cmp_ge_u32 s1, s20
	s_cselect_b32 s22, s2, s0
.LBB0_2:
	s_load_dwordx4 s[0:3], s[14:15], 0x0
	s_clause 0x2
	s_load_dwordx4 s[8:11], s[4:5], 0x8
	s_load_dwordx2 s[16:17], s[4:5], 0x0
	s_load_dwordx2 s[4:5], s[4:5], 0x58
	s_mul_i32 s24, s22, s21
	s_mul_hi_u32 s25, s22, s20
	s_mul_i32 s26, s22, s20
	s_add_i32 s25, s25, s24
	s_sub_u32 s36, s6, s26
	s_subb_u32 s24, 0, s25
	s_mul_hi_u32 s33, s36, 6
	s_mul_i32 s24, s24, 6
	s_mul_i32 s36, s36, 6
	s_add_i32 s33, s33, s24
	s_waitcnt lgkmcnt(0)
	s_mul_i32 s24, s2, s33
	v_cmp_lt_u64_e64 s26, s[10:11], 3
	s_mul_hi_u32 s25, s2, s36
	s_mul_i32 s38, s2, s36
	s_add_i32 s24, s25, s24
	s_mul_i32 s25, s3, s36
	s_add_i32 s37, s24, s25
	s_and_b32 vcc_lo, exec_lo, s26
	s_cbranch_vccnz .LBB0_12
; %bb.3:
	s_add_u32 s24, s14, 16
	s_addc_u32 s25, s15, 0
	s_add_u32 s12, s12, 16
	s_addc_u32 s13, s13, 0
	s_mov_b64 s[26:27], 2
	s_mov_b32 s28, 0
.LBB0_4:                                ; =>This Inner Loop Header: Depth=1
	s_load_dwordx2 s[30:31], s[12:13], 0x0
	s_waitcnt lgkmcnt(0)
	s_or_b64 s[34:35], s[22:23], s[30:31]
	s_mov_b32 s29, s35
                                        ; implicit-def: $sgpr34_sgpr35
	s_cmp_lg_u64 s[28:29], 0
	s_mov_b32 s29, -1
	s_cbranch_scc0 .LBB0_6
; %bb.5:                                ;   in Loop: Header=BB0_4 Depth=1
	v_cvt_f32_u32_e32 v1, s30
	v_cvt_f32_u32_e32 v2, s31
	s_sub_u32 s35, 0, s30
	s_subb_u32 s39, 0, s31
	v_fmac_f32_e32 v1, 0x4f800000, v2
	v_rcp_f32_e32 v1, v1
	v_mul_f32_e32 v1, 0x5f7ffffc, v1
	v_mul_f32_e32 v2, 0x2f800000, v1
	v_trunc_f32_e32 v2, v2
	v_fmac_f32_e32 v1, 0xcf800000, v2
	v_cvt_u32_f32_e32 v2, v2
	v_cvt_u32_f32_e32 v1, v1
	v_readfirstlane_b32 s29, v2
	v_readfirstlane_b32 s34, v1
	s_mul_i32 s40, s35, s29
	s_mul_hi_u32 s42, s35, s34
	s_mul_i32 s41, s39, s34
	s_add_i32 s40, s42, s40
	s_mul_i32 s43, s35, s34
	s_add_i32 s40, s40, s41
	s_mul_hi_u32 s42, s34, s43
	s_mul_hi_u32 s44, s29, s43
	s_mul_i32 s41, s29, s43
	s_mul_hi_u32 s43, s34, s40
	s_mul_i32 s34, s34, s40
	s_mul_hi_u32 s45, s29, s40
	s_add_u32 s34, s42, s34
	s_addc_u32 s42, 0, s43
	s_add_u32 s34, s34, s41
	s_mul_i32 s40, s29, s40
	s_addc_u32 s34, s42, s44
	s_addc_u32 s41, s45, 0
	s_add_u32 s34, s34, s40
	s_addc_u32 s40, 0, s41
	v_add_co_u32 v1, s34, v1, s34
	s_cmp_lg_u32 s34, 0
	s_addc_u32 s29, s29, s40
	v_readfirstlane_b32 s34, v1
	s_mul_i32 s40, s35, s29
	s_mul_hi_u32 s41, s35, s34
	s_mul_i32 s39, s39, s34
	s_add_i32 s40, s41, s40
	s_mul_i32 s35, s35, s34
	s_add_i32 s40, s40, s39
	s_mul_hi_u32 s41, s29, s35
	s_mul_i32 s42, s29, s35
	s_mul_hi_u32 s35, s34, s35
	s_mul_hi_u32 s43, s34, s40
	s_mul_i32 s34, s34, s40
	s_mul_hi_u32 s39, s29, s40
	s_add_u32 s34, s35, s34
	s_addc_u32 s35, 0, s43
	s_add_u32 s34, s34, s42
	s_mul_i32 s40, s29, s40
	s_addc_u32 s34, s35, s41
	s_addc_u32 s35, s39, 0
	s_add_u32 s34, s34, s40
	s_addc_u32 s35, 0, s35
	v_add_co_u32 v1, s34, v1, s34
	s_cmp_lg_u32 s34, 0
	s_addc_u32 s29, s29, s35
	v_readfirstlane_b32 s34, v1
	s_mul_i32 s39, s22, s29
	s_mul_hi_u32 s35, s22, s29
	s_mul_hi_u32 s40, s23, s29
	s_mul_i32 s29, s23, s29
	s_mul_hi_u32 s41, s22, s34
	s_mul_hi_u32 s42, s23, s34
	s_mul_i32 s34, s23, s34
	s_add_u32 s39, s41, s39
	s_addc_u32 s35, 0, s35
	s_add_u32 s34, s39, s34
	s_addc_u32 s34, s35, s42
	s_addc_u32 s35, s40, 0
	s_add_u32 s34, s34, s29
	s_addc_u32 s35, 0, s35
	s_mul_hi_u32 s29, s30, s34
	s_mul_i32 s40, s30, s35
	s_mul_i32 s41, s30, s34
	s_add_i32 s29, s29, s40
	v_sub_co_u32 v1, s40, s22, s41
	s_mul_i32 s39, s31, s34
	s_add_i32 s29, s29, s39
	v_sub_co_u32 v2, s41, v1, s30
	s_sub_i32 s39, s23, s29
	s_cmp_lg_u32 s40, 0
	s_subb_u32 s39, s39, s31
	s_cmp_lg_u32 s41, 0
	v_readfirstlane_b32 s41, v2
	s_subb_u32 s39, s39, 0
	s_cmp_ge_u32 s39, s31
	s_cselect_b32 s42, -1, 0
	s_cmp_ge_u32 s41, s30
	s_cselect_b32 s41, -1, 0
	s_cmp_eq_u32 s39, s31
	s_cselect_b32 s39, s41, s42
	s_add_u32 s41, s34, 1
	s_addc_u32 s42, s35, 0
	s_add_u32 s43, s34, 2
	s_addc_u32 s44, s35, 0
	s_cmp_lg_u32 s39, 0
	s_cselect_b32 s39, s43, s41
	s_cselect_b32 s41, s44, s42
	s_cmp_lg_u32 s40, 0
	v_readfirstlane_b32 s40, v1
	s_subb_u32 s29, s23, s29
	s_cmp_ge_u32 s29, s31
	s_cselect_b32 s42, -1, 0
	s_cmp_ge_u32 s40, s30
	s_cselect_b32 s40, -1, 0
	s_cmp_eq_u32 s29, s31
	s_cselect_b32 s29, s40, s42
	s_cmp_lg_u32 s29, 0
	s_mov_b32 s29, 0
	s_cselect_b32 s35, s41, s35
	s_cselect_b32 s34, s39, s34
.LBB0_6:                                ;   in Loop: Header=BB0_4 Depth=1
	s_andn2_b32 vcc_lo, exec_lo, s29
	s_cbranch_vccnz .LBB0_8
; %bb.7:                                ;   in Loop: Header=BB0_4 Depth=1
	v_cvt_f32_u32_e32 v1, s30
	s_sub_i32 s34, 0, s30
	v_rcp_iflag_f32_e32 v1, v1
	v_mul_f32_e32 v1, 0x4f7ffffe, v1
	v_cvt_u32_f32_e32 v1, v1
	v_readfirstlane_b32 s29, v1
	s_mul_i32 s34, s34, s29
	s_mul_hi_u32 s34, s29, s34
	s_add_i32 s29, s29, s34
	s_mul_hi_u32 s29, s22, s29
	s_mul_i32 s34, s29, s30
	s_add_i32 s35, s29, 1
	s_sub_i32 s34, s22, s34
	s_sub_i32 s39, s34, s30
	s_cmp_ge_u32 s34, s30
	s_cselect_b32 s29, s35, s29
	s_cselect_b32 s34, s39, s34
	s_add_i32 s35, s29, 1
	s_cmp_ge_u32 s34, s30
	s_cselect_b32 s34, s35, s29
	s_mov_b32 s35, s28
.LBB0_8:                                ;   in Loop: Header=BB0_4 Depth=1
	s_load_dwordx2 s[40:41], s[24:25], 0x0
	s_mul_i32 s21, s30, s21
	s_mul_hi_u32 s29, s30, s20
	s_mul_i32 s39, s31, s20
	s_mul_i32 s31, s34, s31
	s_mul_hi_u32 s42, s34, s30
	s_mul_i32 s43, s35, s30
	s_add_i32 s21, s29, s21
	s_add_i32 s29, s42, s31
	s_mul_i32 s44, s34, s30
	s_add_i32 s21, s21, s39
	s_add_i32 s29, s29, s43
	s_sub_u32 s22, s22, s44
	s_subb_u32 s23, s23, s29
	s_mul_i32 s20, s30, s20
	s_waitcnt lgkmcnt(0)
	s_mul_i32 s23, s40, s23
	s_mul_hi_u32 s29, s40, s22
	s_add_i32 s23, s29, s23
	s_mul_i32 s29, s41, s22
	s_mul_i32 s22, s40, s22
	s_add_i32 s23, s23, s29
	s_add_u32 s38, s22, s38
	s_addc_u32 s37, s23, s37
	s_add_u32 s26, s26, 1
	s_addc_u32 s27, s27, 0
	s_add_u32 s24, s24, 8
	v_cmp_ge_u64_e64 s22, s[26:27], s[10:11]
	s_addc_u32 s25, s25, 0
	s_add_u32 s12, s12, 8
	s_addc_u32 s13, s13, 0
	s_and_b32 vcc_lo, exec_lo, s22
	s_cbranch_vccnz .LBB0_10
; %bb.9:                                ;   in Loop: Header=BB0_4 Depth=1
	s_mov_b64 s[22:23], s[34:35]
	s_branch .LBB0_4
.LBB0_10:
	v_cmp_lt_u64_e64 s7, s[6:7], s[20:21]
	s_mov_b64 s[22:23], 0
	s_and_b32 vcc_lo, exec_lo, s7
	s_cbranch_vccnz .LBB0_12
; %bb.11:
	v_cvt_f32_u32_e32 v1, s20
	s_sub_i32 s12, 0, s20
	v_rcp_iflag_f32_e32 v1, v1
	v_mul_f32_e32 v1, 0x4f7ffffe, v1
	v_cvt_u32_f32_e32 v1, v1
	v_readfirstlane_b32 s7, v1
	s_mul_i32 s12, s12, s7
	s_mul_hi_u32 s12, s7, s12
	s_add_i32 s7, s7, s12
	s_mul_hi_u32 s7, s6, s7
	s_mul_i32 s12, s7, s20
	s_sub_i32 s6, s6, s12
	s_add_i32 s12, s7, 1
	s_sub_i32 s13, s6, s20
	s_cmp_ge_u32 s6, s20
	s_cselect_b32 s7, s12, s7
	s_cselect_b32 s6, s13, s6
	s_add_i32 s12, s7, 1
	s_cmp_ge_u32 s6, s20
	s_cselect_b32 s22, s12, s7
.LBB0_12:
	s_lshl_b64 s[6:7], s[10:11], 3
	v_mul_u32_u24_e32 v1, 0x2aab, v0
	s_add_u32 s6, s14, s6
	s_addc_u32 s7, s15, s7
	s_load_dwordx2 s[6:7], s[6:7], 0x0
	v_lshrrev_b32_e32 v133, 16, v1
	v_mul_lo_u16 v1, v133, 6
	v_lshlrev_b32_e32 v135, 4, v133
	v_add_nc_u32_e32 v131, 56, v133
	v_add_nc_u32_e32 v132, 0x70, v133
	;; [unrolled: 1-line block ×3, first 2 shown]
	v_sub_nc_u16 v1, v0, v1
	v_add_nc_u32_e32 v130, 0xe0, v133
	v_add_nc_u32_e32 v128, 0x118, v133
	v_and_b32_e32 v134, 0xffff, v1
	s_waitcnt lgkmcnt(0)
	s_mul_i32 s7, s7, s22
	s_mul_hi_u32 s10, s6, s22
	s_mul_i32 s6, s6, s22
	v_add_co_u32 v1, s11, s36, v134
	s_add_i32 s10, s10, s7
	v_add_co_ci_u32_e64 v2, null, s33, 0, s11
	s_add_u32 s6, s6, s38
	s_addc_u32 s7, s10, s37
	s_add_u32 s10, s36, 6
	s_addc_u32 s11, s33, 0
	v_cmp_gt_u64_e32 vcc_lo, s[18:19], v[1:2]
	v_cmp_le_u64_e64 s10, s[10:11], s[18:19]
	v_mul_u32_u24_e32 v136, 0x1500, v134
	s_or_b32 s10, s10, vcc_lo
	s_and_saveexec_b32 s11, s10
	s_cbranch_execz .LBB0_14
; %bb.13:
	v_mad_u64_u32 v[1:2], null, s2, v134, 0
	v_mad_u64_u32 v[3:4], null, s0, v133, 0
	;; [unrolled: 1-line block ×3, first 2 shown]
	s_lshl_b64 s[12:13], s[6:7], 4
	v_mad_u64_u32 v[7:8], null, s0, v132, 0
	s_add_u32 s12, s4, s12
	v_mad_u64_u32 v[9:10], null, s3, v134, v[2:3]
	v_mov_b32_e32 v2, v6
	v_mad_u64_u32 v[10:11], null, s1, v133, v[4:5]
	v_mad_u64_u32 v[11:12], null, s0, v129, 0
	;; [unrolled: 1-line block ×3, first 2 shown]
	v_mov_b32_e32 v2, v9
	s_addc_u32 s13, s5, s13
	v_mov_b32_e32 v4, v10
	v_mad_u64_u32 v[15:16], null, s0, v128, 0
	v_lshlrev_b64 v[1:2], 4, v[1:2]
	v_mov_b32_e32 v9, v12
	v_mov_b32_e32 v6, v13
	v_lshlrev_b64 v[3:4], 4, v[3:4]
	v_mad_u64_u32 v[13:14], null, s0, v130, 0
	v_add_co_u32 v21, vcc_lo, s12, v1
	v_add_co_ci_u32_e32 v22, vcc_lo, s13, v2, vcc_lo
	v_mad_u64_u32 v[1:2], null, s1, v132, v[8:9]
	v_mad_u64_u32 v[9:10], null, s1, v129, v[9:10]
	v_add_co_u32 v2, vcc_lo, v21, v3
	v_lshlrev_b64 v[5:6], 4, v[5:6]
	v_add_co_ci_u32_e32 v3, vcc_lo, v22, v4, vcc_lo
	v_mov_b32_e32 v4, v14
	v_mov_b32_e32 v8, v1
	;; [unrolled: 1-line block ×4, first 2 shown]
	v_add3_u32 v25, 0, v136, v135
	v_mad_u64_u32 v[9:10], null, s1, v130, v[4:5]
	v_lshlrev_b64 v[7:8], 4, v[7:8]
	v_add_co_u32 v5, vcc_lo, v21, v5
	v_mad_u64_u32 v[16:17], null, s1, v128, v[1:2]
	v_add_co_ci_u32_e32 v6, vcc_lo, v22, v6, vcc_lo
	v_mov_b32_e32 v14, v9
	v_lshlrev_b64 v[10:11], 4, v[11:12]
	v_add_co_u32 v17, vcc_lo, v21, v7
	v_add_co_ci_u32_e32 v18, vcc_lo, v22, v8, vcc_lo
	v_lshlrev_b64 v[7:8], 4, v[13:14]
	v_add_co_u32 v13, vcc_lo, v21, v10
	v_lshlrev_b64 v[9:10], 4, v[15:16]
	v_add_co_ci_u32_e32 v14, vcc_lo, v22, v11, vcc_lo
	v_add_co_u32 v19, vcc_lo, v21, v7
	v_add_co_ci_u32_e32 v20, vcc_lo, v22, v8, vcc_lo
	v_add_co_u32 v21, vcc_lo, v21, v9
	v_add_co_ci_u32_e32 v22, vcc_lo, v22, v10, vcc_lo
	s_clause 0x5
	global_load_dwordx4 v[1:4], v[2:3], off
	global_load_dwordx4 v[5:8], v[5:6], off
	;; [unrolled: 1-line block ×6, first 2 shown]
	s_waitcnt vmcnt(5)
	ds_write_b128 v25, v[1:4]
	s_waitcnt vmcnt(4)
	ds_write_b128 v25, v[5:8] offset:896
	s_waitcnt vmcnt(3)
	ds_write_b128 v25, v[9:12] offset:1792
	;; [unrolled: 2-line block ×5, first 2 shown]
.LBB0_14:
	s_or_b32 exec_lo, exec_lo, s11
	s_add_u32 s11, 0, 0xaaa80000
	s_addc_u32 s12, 0, 0xaa
	s_mul_hi_u32 s14, s11, -6
	s_add_i32 s12, s12, 0x2aaaaa00
	v_mov_b32_e32 v1, 0x493
	s_sub_i32 s14, s14, s11
	s_mul_i32 s18, s12, -6
	s_mul_i32 s13, s11, -6
	s_add_i32 s14, s14, s18
	s_mul_hi_u32 s15, s12, s13
	s_mul_i32 s18, s12, s13
	s_mul_i32 s19, s11, s14
	s_mul_hi_u32 s13, s11, s13
	v_mul_u32_u24_sdwa v1, v0, v1 dst_sel:DWORD dst_unused:UNUSED_PAD src0_sel:WORD_0 src1_sel:DWORD
	s_mul_hi_u32 s20, s11, s14
	s_add_u32 s13, s13, s19
	s_addc_u32 s19, 0, s20
	s_mul_hi_u32 s20, s12, s14
	s_add_u32 s13, s13, s18
	s_addc_u32 s13, s19, s15
	s_mul_i32 s14, s12, s14
	v_lshrrev_b32_e32 v5, 16, v1
	s_addc_u32 s15, s20, 0
	s_add_u32 s13, s13, s14
	s_waitcnt lgkmcnt(0)
	v_add_co_u32 v3, s11, s11, s13
	s_addc_u32 s13, 0, s15
	s_cmp_lg_u32 s11, 0
	v_add_co_u32 v52, s11, s36, v5
	v_add_co_ci_u32_e64 v6, null, s33, 0, s11
	s_addc_u32 s11, s12, s13
	v_mul_hi_u32 v7, v52, v3
	v_mad_u64_u32 v[1:2], null, v52, s11, 0
	v_mad_u64_u32 v[3:4], null, v6, v3, 0
	v_mul_lo_u16 v5, v5, 56
	s_barrier
	buffer_gl0_inv
	s_mov_b32 s12, 0xe8584caa
	v_add_co_u32 v7, vcc_lo, v7, v1
	v_add_co_ci_u32_e32 v8, vcc_lo, 0, v2, vcc_lo
	v_mad_u64_u32 v[1:2], null, v6, s11, 0
	v_add_co_u32 v3, vcc_lo, v7, v3
	v_add_co_ci_u32_e32 v3, vcc_lo, v8, v4, vcc_lo
	v_sub_nc_u16 v42, v0, v5
	s_mov_b32 s13, 0xbfebb67a
	v_add_co_ci_u32_e32 v2, vcc_lo, 0, v2, vcc_lo
	v_add_co_u32 v1, vcc_lo, v3, v1
	v_and_b32_e32 v28, 0xffff, v42
	v_add_co_ci_u32_e32 v3, vcc_lo, 0, v2, vcc_lo
	v_mad_u64_u32 v[1:2], null, v1, 6, 0
	v_lshlrev_b32_e32 v22, 4, v28
	s_mov_b32 s15, 0x3febb67a
	s_mov_b32 s14, s12
	v_mad_u64_u32 v[2:3], null, v3, 6, v[2:3]
	v_sub_co_u32 v1, vcc_lo, v52, v1
	v_sub_co_ci_u32_e32 v2, vcc_lo, v6, v2, vcc_lo
	v_sub_co_u32 v3, vcc_lo, v1, 6
	v_subrev_co_ci_u32_e32 v4, vcc_lo, 0, v2, vcc_lo
	v_cmp_lt_u32_e32 vcc_lo, 5, v3
	v_cndmask_b32_e64 v6, 0, -1, vcc_lo
	v_cmp_lt_u32_e32 vcc_lo, 5, v1
	v_cndmask_b32_e64 v7, 0, -1, vcc_lo
	v_cmp_eq_u32_e32 vcc_lo, 0, v4
	v_cndmask_b32_e32 v4, -1, v6, vcc_lo
	v_cmp_eq_u32_e32 vcc_lo, 0, v2
	v_add_nc_u32_e32 v6, -6, v3
	v_cndmask_b32_e32 v2, -1, v7, vcc_lo
	v_cmp_ne_u32_e32 vcc_lo, 0, v4
	v_cndmask_b32_e32 v3, v3, v6, vcc_lo
	v_cmp_ne_u32_e32 vcc_lo, 0, v2
	v_cndmask_b32_e32 v0, v1, v3, vcc_lo
	v_cmp_gt_u16_e32 vcc_lo, 48, v42
	v_mul_u32_u24_e32 v0, 0x150, v0
	v_lshlrev_b32_e32 v29, 4, v0
	v_add3_u32 v137, 0, v22, v29
	ds_read_b128 v[0:3], v137 offset:2688
	ds_read_b128 v[4:7], v137 offset:4480
	;; [unrolled: 1-line block ×5, first 2 shown]
	v_add3_u32 v138, 0, v29, v22
	s_waitcnt lgkmcnt(3)
	v_add_f64 v[20:21], v[2:3], v[6:7]
	v_add_f64 v[24:25], v[0:1], v[4:5]
	v_add_f64 v[26:27], v[0:1], -v[4:5]
	s_waitcnt lgkmcnt(0)
	v_add_f64 v[32:33], v[12:13], v[16:17]
	v_add_f64 v[34:35], v[14:15], v[18:19]
	v_add_f64 v[36:37], v[2:3], -v[6:7]
	v_add_f64 v[40:41], v[14:15], -v[18:19]
	v_add_f64 v[0:1], v[8:9], v[0:1]
	v_add_f64 v[2:3], v[10:11], v[2:3]
	v_fma_f64 v[30:31], v[20:21], -0.5, v[10:11]
	v_fma_f64 v[24:25], v[24:25], -0.5, v[8:9]
	ds_read_b128 v[20:23], v138
	s_waitcnt lgkmcnt(0)
	s_barrier
	buffer_gl0_inv
	v_add_f64 v[4:5], v[0:1], v[4:5]
	v_add_f64 v[6:7], v[2:3], v[6:7]
	v_fma_f64 v[38:39], v[26:27], s[14:15], v[30:31]
	v_fma_f64 v[26:27], v[26:27], s[12:13], v[30:31]
	v_add_f64 v[30:31], v[20:21], v[12:13]
	v_add_f64 v[14:15], v[22:23], v[14:15]
	v_add_f64 v[12:13], v[12:13], -v[16:17]
	v_fma_f64 v[8:9], v[32:33], -0.5, v[20:21]
	v_fma_f64 v[10:11], v[34:35], -0.5, v[22:23]
	v_fma_f64 v[20:21], v[36:37], s[12:13], v[24:25]
	v_fma_f64 v[22:23], v[36:37], s[14:15], v[24:25]
	v_mul_f64 v[24:25], v[38:39], s[12:13]
	v_mul_f64 v[32:33], v[26:27], s[12:13]
	v_mul_f64 v[34:35], v[38:39], 0.5
	v_mul_f64 v[26:27], v[26:27], -0.5
	v_add_f64 v[16:17], v[30:31], v[16:17]
	v_add_f64 v[14:15], v[14:15], v[18:19]
	v_fma_f64 v[18:19], v[40:41], s[12:13], v[8:9]
	v_fma_f64 v[30:31], v[40:41], s[14:15], v[8:9]
	;; [unrolled: 1-line block ×4, first 2 shown]
	v_fma_f64 v[24:25], v[20:21], 0.5, v[24:25]
	v_fma_f64 v[32:33], v[22:23], -0.5, v[32:33]
	v_fma_f64 v[34:35], v[20:21], s[14:15], v[34:35]
	v_fma_f64 v[22:23], v[22:23], s[14:15], v[26:27]
	v_add_f64 v[0:1], v[16:17], v[4:5]
	v_add_f64 v[2:3], v[14:15], v[6:7]
	v_add_f64 v[8:9], v[16:17], -v[4:5]
	v_add_f64 v[10:11], v[14:15], -v[6:7]
                                        ; implicit-def: $vgpr26_vgpr27
	v_add_f64 v[4:5], v[18:19], v[24:25]
	v_add_f64 v[12:13], v[30:31], v[32:33]
	;; [unrolled: 1-line block ×4, first 2 shown]
	v_add_f64 v[16:17], v[18:19], -v[24:25]
	v_add_f64 v[20:21], v[30:31], -v[32:33]
	;; [unrolled: 1-line block ×4, first 2 shown]
                                        ; kill: def $vgpr24_vgpr25 killed $sgpr0_sgpr1 killed $exec
	v_mad_u32_u24 v24, 0x50, v28, v137
	ds_write_b128 v24, v[0:3]
	ds_write_b128 v24, v[8:11] offset:48
	ds_write_b128 v24, v[4:7] offset:16
	;; [unrolled: 1-line block ×5, first 2 shown]
	s_waitcnt lgkmcnt(0)
	s_barrier
	buffer_gl0_inv
	s_and_saveexec_b32 s11, vcc_lo
	s_cbranch_execz .LBB0_16
; %bb.15:
	ds_read_b128 v[0:3], v138
	ds_read_b128 v[4:7], v137 offset:768
	ds_read_b128 v[12:15], v137 offset:1536
	;; [unrolled: 1-line block ×6, first 2 shown]
.LBB0_16:
	s_or_b32 exec_lo, exec_lo, s11
	v_and_b32_e32 v30, 0xff, v28
	v_mov_b32_e32 v32, 6
	s_mov_b32 s12, 0x37e14327
	s_mov_b32 s13, 0x3fe948f6
	;; [unrolled: 1-line block ×3, first 2 shown]
	v_mul_lo_u16 v30, 0xab, v30
	s_mov_b32 s18, 0xe976ee23
	s_mov_b32 s15, 0x3fac98ee
	;; [unrolled: 1-line block ×4, first 2 shown]
	v_lshrrev_b16 v30, 10, v30
	s_mov_b32 s20, 0x5476071b
	s_mov_b32 s23, 0xbfd5d0dc
	;; [unrolled: 1-line block ×3, first 2 shown]
	v_mul_lo_u16 v31, v30, 6
	v_sub_nc_u16 v31, v28, v31
	v_mul_u32_u24_sdwa v32, v31, v32 dst_sel:DWORD dst_unused:UNUSED_PAD src0_sel:BYTE_0 src1_sel:DWORD
	v_lshlrev_b32_e32 v53, 4, v32
	s_clause 0x5
	global_load_dwordx4 v[32:35], v53, s[16:17]
	global_load_dwordx4 v[36:39], v53, s[16:17] offset:16
	global_load_dwordx4 v[40:43], v53, s[16:17] offset:80
	;; [unrolled: 1-line block ×5, first 2 shown]
	s_waitcnt vmcnt(0) lgkmcnt(0)
	s_barrier
	buffer_gl0_inv
	v_mul_f64 v[57:58], v[6:7], v[34:35]
	v_mul_f64 v[34:35], v[4:5], v[34:35]
	;; [unrolled: 1-line block ×12, first 2 shown]
	v_fma_f64 v[4:5], v[4:5], v[32:33], v[57:58]
	v_fma_f64 v[6:7], v[6:7], v[32:33], -v[34:35]
	v_fma_f64 v[12:13], v[12:13], v[36:37], v[59:60]
	v_fma_f64 v[14:15], v[14:15], v[36:37], -v[38:39]
	;; [unrolled: 2-line block ×6, first 2 shown]
	v_add_f64 v[32:33], v[4:5], v[24:25]
	v_add_f64 v[34:35], v[6:7], v[26:27]
	;; [unrolled: 1-line block ×4, first 2 shown]
	v_add_f64 v[12:13], v[12:13], -v[20:21]
	v_add_f64 v[14:15], v[14:15], -v[22:23]
	v_add_f64 v[40:41], v[8:9], v[16:17]
	v_add_f64 v[42:43], v[10:11], v[18:19]
	v_add_f64 v[8:9], v[16:17], -v[8:9]
	v_add_f64 v[10:11], v[18:19], -v[10:11]
	;; [unrolled: 1-line block ×4, first 2 shown]
	v_add_f64 v[16:17], v[36:37], v[32:33]
	v_add_f64 v[18:19], v[38:39], v[34:35]
	v_add_f64 v[20:21], v[32:33], -v[40:41]
	v_add_f64 v[22:23], v[34:35], -v[42:43]
	v_add_f64 v[24:25], v[40:41], -v[36:37]
	v_add_f64 v[26:27], v[42:43], -v[38:39]
	v_add_f64 v[44:45], v[8:9], -v[12:13]
	v_add_f64 v[46:47], v[10:11], -v[14:15]
	v_add_f64 v[48:49], v[12:13], -v[4:5]
	v_add_f64 v[50:51], v[14:15], -v[6:7]
	v_add_f64 v[32:33], v[36:37], -v[32:33]
	v_add_f64 v[34:35], v[38:39], -v[34:35]
	v_add_f64 v[12:13], v[8:9], v[12:13]
	v_add_f64 v[14:15], v[10:11], v[14:15]
	v_add_f64 v[8:9], v[4:5], -v[8:9]
	v_add_f64 v[10:11], v[6:7], -v[10:11]
	v_add_f64 v[16:17], v[40:41], v[16:17]
	v_add_f64 v[18:19], v[42:43], v[18:19]
	v_mul_f64 v[20:21], v[20:21], s[12:13]
	v_mul_f64 v[22:23], v[22:23], s[12:13]
	s_mov_b32 s12, 0x429ad128
	v_mul_f64 v[36:37], v[24:25], s[14:15]
	v_mul_f64 v[38:39], v[26:27], s[14:15]
	;; [unrolled: 1-line block ×4, first 2 shown]
	s_mov_b32 s13, 0xbfebfeb5
	s_mov_b32 s18, 0xaaaaaaaa
	v_mul_f64 v[44:45], v[48:49], s[12:13]
	v_mul_f64 v[46:47], v[50:51], s[12:13]
	s_mov_b32 s19, 0xbff2aaaa
	v_add_f64 v[4:5], v[12:13], v[4:5]
	v_add_f64 v[6:7], v[14:15], v[6:7]
	;; [unrolled: 1-line block ×4, first 2 shown]
	v_fma_f64 v[12:13], v[24:25], s[14:15], v[20:21]
	v_fma_f64 v[14:15], v[26:27], s[14:15], v[22:23]
	v_fma_f64 v[24:25], v[32:33], s[20:21], -v[36:37]
	v_fma_f64 v[26:27], v[34:35], s[20:21], -v[38:39]
	s_mov_b32 s21, 0xbfe77f67
	v_fma_f64 v[36:37], v[8:9], s[22:23], v[40:41]
	v_fma_f64 v[38:39], v[10:11], s[22:23], v[42:43]
	s_mov_b32 s23, 0x3fd5d0dc
	v_fma_f64 v[40:41], v[48:49], s[12:13], -v[40:41]
	v_fma_f64 v[42:43], v[50:51], s[12:13], -v[42:43]
	;; [unrolled: 1-line block ×6, first 2 shown]
	s_mov_b32 s12, 0x37c3f68c
	s_mov_b32 s13, 0xbfdc38aa
	v_fma_f64 v[16:17], v[16:17], s[18:19], v[0:1]
	v_fma_f64 v[18:19], v[18:19], s[18:19], v[2:3]
	;; [unrolled: 1-line block ×8, first 2 shown]
	v_add_f64 v[8:9], v[12:13], v[16:17]
	v_add_f64 v[10:11], v[14:15], v[18:19]
	;; [unrolled: 1-line block ×7, first 2 shown]
	v_add_f64 v[38:39], v[10:11], -v[32:33]
	v_add_f64 v[20:21], v[6:7], v[12:13]
	v_add_f64 v[22:23], v[14:15], -v[4:5]
	v_add_f64 v[56:57], v[16:17], -v[42:43]
	v_add_f64 v[58:59], v[40:41], v[18:19]
	v_add_f64 v[64:65], v[42:43], v[16:17]
	v_add_f64 v[66:67], v[18:19], -v[40:41]
	v_add_f64 v[84:85], v[12:13], -v[6:7]
	v_add_f64 v[86:87], v[4:5], v[14:15]
	v_add_f64 v[80:81], v[8:9], -v[34:35]
	v_add_f64 v[82:83], v[32:33], v[10:11]
	s_and_saveexec_b32 s11, vcc_lo
	s_cbranch_execz .LBB0_18
; %bb.17:
	v_and_b32_e32 v4, 0xffff, v30
	v_mov_b32_e32 v5, 4
	v_mad_u32_u24 v4, 0x2a0, v4, 0
	v_lshlrev_b32_sdwa v5, v5, v31 dst_sel:DWORD dst_unused:UNUSED_PAD src0_sel:DWORD src1_sel:BYTE_0
	v_add3_u32 v4, v4, v5, v29
	ds_write_b128 v4, v[0:3]
	ds_write_b128 v4, v[36:39] offset:96
	ds_write_b128 v4, v[20:23] offset:192
	;; [unrolled: 1-line block ×6, first 2 shown]
.LBB0_18:
	s_or_b32 exec_lo, exec_lo, s11
	v_cmp_gt_u16_e32 vcc_lo, 42, v28
	s_waitcnt lgkmcnt(0)
	s_barrier
	buffer_gl0_inv
                                        ; implicit-def: $vgpr126_vgpr127
	s_and_saveexec_b32 s11, vcc_lo
	s_cbranch_execz .LBB0_20
; %bb.19:
	ds_read_b128 v[0:3], v138
	ds_read_b128 v[36:39], v137 offset:672
	ds_read_b128 v[20:23], v137 offset:1344
	;; [unrolled: 1-line block ×7, first 2 shown]
.LBB0_20:
	s_or_b32 exec_lo, exec_lo, s11
	v_subrev_nc_u32_e32 v4, 42, v28
	v_mov_b32_e32 v68, 4
	v_cndmask_b32_e32 v139, v4, v28, vcc_lo
	v_mul_lo_u32 v4, v52, v139
	v_add_nc_u32_e32 v5, 42, v139
	v_add_nc_u32_e32 v6, 0x54, v139
	;; [unrolled: 1-line block ×5, first 2 shown]
	v_mul_lo_u32 v5, v52, v5
	v_mul_lo_u32 v6, v52, v6
	v_bfe_u32 v10, v4, 16, 8
	v_bfe_u32 v9, v4, 8, 8
	v_mul_lo_u32 v12, v52, v7
	v_mul_lo_u32 v16, v52, v8
	v_lshlrev_b32_sdwa v4, v68, v4 dst_sel:DWORD dst_unused:UNUSED_PAD src0_sel:DWORD src1_sel:BYTE_0
	v_lshl_or_b32 v8, v10, 4, 0x2000
	v_bfe_u32 v10, v5, 8, 8
	v_lshl_or_b32 v7, v9, 4, 0x1000
	v_lshlrev_b32_sdwa v9, v68, v5 dst_sel:DWORD dst_unused:UNUSED_PAD src0_sel:DWORD src1_sel:BYTE_0
	v_bfe_u32 v5, v5, 16, 8
	v_bfe_u32 v14, v6, 16, 8
	;; [unrolled: 1-line block ×3, first 2 shown]
	v_lshl_or_b32 v10, v10, 4, 0x1000
	v_lshlrev_b32_sdwa v13, v68, v6 dst_sel:DWORD dst_unused:UNUSED_PAD src0_sel:DWORD src1_sel:BYTE_0
	v_lshl_or_b32 v15, v5, 4, 0x2000
	v_lshl_or_b32 v14, v14, 4, 0x2000
	v_lshlrev_b32_sdwa v17, v68, v12 dst_sel:DWORD dst_unused:UNUSED_PAD src0_sel:DWORD src1_sel:BYTE_0
	v_lshl_or_b32 v18, v11, 4, 0x1000
	s_clause 0x7
	global_load_dwordx4 v[24:27], v4, s[8:9]
	global_load_dwordx4 v[28:31], v7, s[8:9]
	global_load_dwordx4 v[4:7], v8, s[8:9]
	global_load_dwordx4 v[32:35], v9, s[8:9]
	global_load_dwordx4 v[40:43], v10, s[8:9]
	global_load_dwordx4 v[8:11], v15, s[8:9]
	global_load_dwordx4 v[44:47], v13, s[8:9]
	global_load_dwordx4 v[48:51], v18, s[8:9]
	v_bfe_u32 v18, v12, 8, 8
	v_bfe_u32 v19, v12, 16, 8
	s_clause 0x1
	global_load_dwordx4 v[12:15], v14, s[8:9]
	global_load_dwordx4 v[60:63], v17, s[8:9]
	v_bfe_u32 v17, v16, 8, 8
	v_lshlrev_b32_sdwa v54, v68, v16 dst_sel:DWORD dst_unused:UNUSED_PAD src0_sel:DWORD src1_sel:BYTE_0
	v_lshl_or_b32 v18, v18, 4, 0x1000
	v_lshl_or_b32 v19, v19, 4, 0x2000
	v_mul_lo_u32 v53, v52, v53
	v_lshl_or_b32 v55, v17, 4, 0x1000
	v_add_nc_u32_e32 v70, 0xfc, v139
	v_bfe_u32 v69, v16, 16, 8
	s_clause 0x3
	global_load_dwordx4 v[76:79], v18, s[8:9]
	global_load_dwordx4 v[16:19], v19, s[8:9]
	;; [unrolled: 1-line block ×4, first 2 shown]
	v_add_nc_u32_e32 v55, 0x126, v139
	v_mul_lo_u32 v70, v52, v70
	v_lshl_or_b32 v54, v69, 4, 0x2000
	v_bfe_u32 v71, v53, 8, 8
	v_bfe_u32 v72, v53, 16, 8
	v_mul_lo_u32 v73, v52, v55
	v_lshlrev_b32_sdwa v69, v68, v53 dst_sel:DWORD dst_unused:UNUSED_PAD src0_sel:DWORD src1_sel:BYTE_0
	s_clause 0x1
	global_load_dwordx4 v[52:55], v54, s[8:9]
	global_load_dwordx4 v[100:103], v69, s[8:9]
	v_lshl_or_b32 v69, v71, 4, 0x1000
	v_lshl_or_b32 v71, v72, 4, 0x2000
	v_bfe_u32 v72, v70, 8, 8
	v_bfe_u32 v74, v70, 16, 8
	v_lshlrev_b32_sdwa v75, v68, v70 dst_sel:DWORD dst_unused:UNUSED_PAD src0_sel:DWORD src1_sel:BYTE_0
	v_bfe_u32 v70, v73, 8, 8
	v_bfe_u32 v88, v73, 16, 8
	v_lshl_or_b32 v72, v72, 4, 0x1000
	v_lshl_or_b32 v74, v74, 4, 0x2000
	v_lshlrev_b32_sdwa v89, v68, v73 dst_sel:DWORD dst_unused:UNUSED_PAD src0_sel:DWORD src1_sel:BYTE_0
	v_lshl_or_b32 v90, v70, 4, 0x1000
	v_lshl_or_b32 v88, v88, 4, 0x2000
	s_clause 0x7
	global_load_dwordx4 v[104:107], v69, s[8:9]
	global_load_dwordx4 v[68:71], v71, s[8:9]
	global_load_dwordx4 v[108:111], v75, s[8:9]
	global_load_dwordx4 v[112:115], v72, s[8:9]
	global_load_dwordx4 v[72:75], v74, s[8:9]
	global_load_dwordx4 v[116:119], v89, s[8:9]
	global_load_dwordx4 v[120:123], v90, s[8:9]
	global_load_dwordx4 v[88:91], v88, s[8:9]
	s_waitcnt vmcnt(0) lgkmcnt(0)
	s_barrier
	buffer_gl0_inv
	s_and_saveexec_b32 s8, vcc_lo
	s_cbranch_execz .LBB0_22
; %bb.21:
	v_mul_i32_i24_e32 v139, 7, v139
	v_mov_b32_e32 v140, 0
	s_mov_b32 s12, 0x667f3bcd
	s_mov_b32 s13, 0x3fe6a09e
	;; [unrolled: 1-line block ×4, first 2 shown]
	v_lshlrev_b64 v[139:140], 4, v[139:140]
	v_add_co_u32 v159, vcc_lo, s16, v139
	v_add_co_ci_u32_e32 v160, vcc_lo, s17, v140, vcc_lo
	s_clause 0x4
	global_load_dwordx4 v[139:142], v[159:160], off offset:576
	global_load_dwordx4 v[143:146], v[159:160], off offset:640
	;; [unrolled: 1-line block ×5, first 2 shown]
	s_waitcnt vmcnt(4)
	v_mul_f64 v[161:162], v[36:37], v[141:142]
	v_mul_f64 v[141:142], v[38:39], v[141:142]
	v_fma_f64 v[161:162], v[38:39], v[139:140], -v[161:162]
	v_fma_f64 v[139:140], v[36:37], v[139:140], v[141:142]
	s_waitcnt vmcnt(3)
	v_mul_f64 v[141:142], v[84:85], v[145:146]
	v_mul_f64 v[145:146], v[86:87], v[145:146]
	global_load_dwordx4 v[36:39], v[159:160], off offset:624
	v_fma_f64 v[141:142], v[86:87], v[143:144], -v[141:142]
	v_fma_f64 v[143:144], v[84:85], v[143:144], v[145:146]
	global_load_dwordx4 v[84:87], v[159:160], off offset:672
	s_waitcnt vmcnt(3)
	v_mul_f64 v[145:146], v[58:59], v[153:154]
	v_mul_f64 v[153:154], v[56:57], v[153:154]
	v_fma_f64 v[56:57], v[56:57], v[151:152], v[145:146]
	v_fma_f64 v[58:59], v[58:59], v[151:152], -v[153:154]
	v_mul_f64 v[151:152], v[20:21], v[149:150]
	s_waitcnt vmcnt(2)
	v_mul_f64 v[153:154], v[80:81], v[157:158]
	s_waitcnt vmcnt(1)
	v_mul_f64 v[159:160], v[64:65], v[38:39]
	v_mul_f64 v[38:39], v[66:67], v[38:39]
	s_waitcnt vmcnt(0)
	v_mul_f64 v[145:146], v[124:125], v[86:87]
	v_fma_f64 v[66:67], v[66:67], v[36:37], -v[159:160]
	v_fma_f64 v[36:37], v[64:65], v[36:37], v[38:39]
	v_mul_f64 v[38:39], v[126:127], v[86:87]
	v_mul_f64 v[64:65], v[22:23], v[149:150]
	;; [unrolled: 1-line block ×3, first 2 shown]
	v_fma_f64 v[22:23], v[22:23], v[147:148], -v[151:152]
	v_fma_f64 v[82:83], v[82:83], v[155:156], -v[153:154]
	v_mul_f64 v[149:150], v[46:47], v[50:51]
	v_mul_f64 v[153:154], v[26:27], v[30:31]
	;; [unrolled: 1-line block ×6, first 2 shown]
	v_fma_f64 v[126:127], v[126:127], v[84:85], -v[145:146]
	v_add_f64 v[66:67], v[2:3], -v[66:67]
	v_add_f64 v[36:37], v[0:1], -v[36:37]
	v_fma_f64 v[38:39], v[124:125], v[84:85], v[38:39]
	v_fma_f64 v[20:21], v[20:21], v[147:148], v[64:65]
	;; [unrolled: 1-line block ×3, first 2 shown]
	v_add_f64 v[80:81], v[139:140], -v[143:144]
	v_add_f64 v[82:83], v[22:23], -v[82:83]
	;; [unrolled: 1-line block ×3, first 2 shown]
	v_mul_f64 v[124:125], v[118:119], v[122:123]
	v_mul_f64 v[122:123], v[116:117], v[122:123]
	;; [unrolled: 1-line block ×6, first 2 shown]
	v_fma_f64 v[44:45], v[44:45], v[48:49], -v[149:150]
	v_fma_f64 v[24:25], v[24:25], v[28:29], -v[153:154]
	;; [unrolled: 1-line block ×3, first 2 shown]
	v_fma_f64 v[34:35], v[34:35], v[40:41], v[42:43]
	v_fma_f64 v[26:27], v[26:27], v[28:29], v[30:31]
	;; [unrolled: 1-line block ×3, first 2 shown]
	v_add_f64 v[84:85], v[58:59], -v[126:127]
	v_fma_f64 v[2:3], v[2:3], 2.0, -v[66:67]
	v_fma_f64 v[0:1], v[0:1], 2.0, -v[36:37]
	v_add_f64 v[38:39], v[56:57], -v[38:39]
	v_mul_f64 v[126:127], v[110:111], v[114:115]
	v_add_f64 v[64:65], v[20:21], -v[64:65]
	v_fma_f64 v[139:140], v[139:140], 2.0, -v[80:81]
	v_fma_f64 v[22:23], v[22:23], 2.0, -v[82:83]
	v_add_f64 v[82:83], v[36:37], v[82:83]
	v_fma_f64 v[143:144], v[161:162], 2.0, -v[86:87]
	v_mul_f64 v[114:115], v[108:109], v[114:115]
	v_fma_f64 v[116:117], v[116:117], v[120:121], -v[124:125]
	v_fma_f64 v[118:119], v[118:119], v[120:121], v[122:123]
	v_fma_f64 v[92:93], v[92:93], v[96:97], -v[145:146]
	v_fma_f64 v[60:61], v[60:61], v[76:77], -v[147:148]
	v_fma_f64 v[62:63], v[62:63], v[76:77], v[78:79]
	v_fma_f64 v[94:95], v[94:95], v[96:97], v[98:99]
	v_add_f64 v[141:142], v[80:81], v[84:85]
	v_fma_f64 v[58:59], v[58:59], 2.0, -v[84:85]
	v_mul_f64 v[84:85], v[102:103], v[106:107]
	v_fma_f64 v[56:57], v[56:57], 2.0, -v[38:39]
	v_add_f64 v[38:39], v[86:87], -v[38:39]
	v_fma_f64 v[20:21], v[20:21], 2.0, -v[64:65]
	v_add_f64 v[64:65], v[66:67], -v[64:65]
	v_mul_f64 v[106:107], v[100:101], v[106:107]
	v_add_f64 v[22:23], v[2:3], -v[22:23]
	v_fma_f64 v[36:37], v[36:37], 2.0, -v[82:83]
	v_fma_f64 v[108:109], v[108:109], v[112:113], -v[126:127]
	v_fma_f64 v[110:111], v[110:111], v[112:113], v[114:115]
	v_mul_f64 v[28:29], v[118:119], v[90:91]
	v_mul_f64 v[30:31], v[116:117], v[90:91]
	;; [unrolled: 1-line block ×6, first 2 shown]
	v_fma_f64 v[80:81], v[80:81], 2.0, -v[141:142]
	v_add_f64 v[58:59], v[143:144], -v[58:59]
	v_fma_f64 v[84:85], v[100:101], v[104:105], -v[84:85]
	v_add_f64 v[56:57], v[139:140], -v[56:57]
	v_fma_f64 v[86:87], v[86:87], 2.0, -v[38:39]
	v_add_f64 v[20:21], v[0:1], -v[20:21]
	v_fma_f64 v[66:67], v[66:67], 2.0, -v[64:65]
	v_fma_f64 v[100:101], v[102:103], v[104:105], v[106:107]
	v_fma_f64 v[76:77], v[141:142], s[12:13], v[82:83]
	;; [unrolled: 1-line block ×3, first 2 shown]
	v_fma_f64 v[2:3], v[2:3], 2.0, -v[22:23]
	v_mul_f64 v[42:43], v[108:109], v[74:75]
	v_mul_f64 v[40:41], v[110:111], v[74:75]
	;; [unrolled: 1-line block ×5, first 2 shown]
	v_fma_f64 v[46:47], v[12:13], v[46:47], v[90:91]
	v_mul_f64 v[18:19], v[62:63], v[18:19]
	v_fma_f64 v[26:27], v[4:5], v[26:27], v[112:113]
	v_fma_f64 v[24:25], v[4:5], v[24:25], -v[6:7]
	v_fma_f64 v[44:45], v[12:13], v[44:45], -v[14:15]
	v_fma_f64 v[96:97], v[80:81], s[14:15], v[36:37]
	v_fma_f64 v[102:103], v[143:144], 2.0, -v[58:59]
	v_mul_f64 v[50:51], v[84:85], v[70:71]
	v_fma_f64 v[98:99], v[139:140], 2.0, -v[56:57]
	v_add_f64 v[56:57], v[22:23], -v[56:57]
	v_fma_f64 v[0:1], v[0:1], 2.0, -v[20:21]
	v_fma_f64 v[104:105], v[86:87], s[14:15], v[66:67]
	v_add_f64 v[58:59], v[20:21], v[58:59]
	v_mul_f64 v[48:49], v[100:101], v[70:71]
	v_mul_f64 v[70:71], v[92:93], v[54:55]
	v_fma_f64 v[38:39], v[38:39], s[12:13], v[76:77]
	v_fma_f64 v[76:77], v[141:142], s[14:15], v[78:79]
	v_mul_f64 v[54:55], v[94:95], v[54:55]
	v_fma_f64 v[62:63], v[16:17], v[62:63], v[74:75]
	v_fma_f64 v[34:35], v[8:9], v[34:35], v[106:107]
	v_fma_f64 v[40:41], v[72:73], v[108:109], -v[40:41]
	v_fma_f64 v[32:33], v[8:9], v[32:33], -v[10:11]
	;; [unrolled: 1-line block ×3, first 2 shown]
	v_fma_f64 v[78:79], v[86:87], s[12:13], v[96:97]
	v_add_f64 v[96:97], v[2:3], -v[102:103]
	v_fma_f64 v[22:23], v[22:23], 2.0, -v[56:57]
	v_add_f64 v[86:87], v[0:1], -v[98:99]
	v_fma_f64 v[80:81], v[80:81], s[14:15], v[104:105]
	v_fma_f64 v[98:99], v[88:89], v[116:117], -v[28:29]
	v_fma_f64 v[28:29], v[88:89], v[118:119], v[30:31]
	v_fma_f64 v[30:31], v[72:73], v[110:111], v[42:43]
	;; [unrolled: 1-line block ×3, first 2 shown]
	v_fma_f64 v[20:21], v[20:21], 2.0, -v[58:59]
	v_fma_f64 v[50:51], v[52:53], v[94:95], v[70:71]
	v_fma_f64 v[70:71], v[82:83], 2.0, -v[38:39]
	v_fma_f64 v[64:65], v[64:65], 2.0, -v[76:77]
	v_fma_f64 v[48:49], v[68:69], v[84:85], -v[48:49]
	v_fma_f64 v[52:53], v[52:53], v[92:93], -v[54:55]
	v_fma_f64 v[36:37], v[36:37], 2.0, -v[78:79]
	v_fma_f64 v[74:75], v[2:3], 2.0, -v[96:97]
	;; [unrolled: 1-line block ×4, first 2 shown]
	v_mul_f64 v[2:3], v[38:39], v[28:29]
	v_mul_f64 v[4:5], v[58:59], v[30:31]
	;; [unrolled: 1-line block ×16, first 2 shown]
	v_fma_f64 v[2:3], v[76:77], v[98:99], -v[2:3]
	v_fma_f64 v[6:7], v[56:57], v[40:41], -v[4:5]
	v_fma_f64 v[4:5], v[58:59], v[40:41], v[8:9]
	v_fma_f64 v[10:11], v[80:81], v[48:49], -v[10:11]
	v_fma_f64 v[8:9], v[78:79], v[48:49], v[12:13]
	;; [unrolled: 2-line block ×6, first 2 shown]
	v_fma_f64 v[0:1], v[38:39], v[98:99], v[68:69]
	v_fma_f64 v[30:31], v[74:75], v[24:25], -v[60:61]
	v_fma_f64 v[24:25], v[36:37], v[32:33], v[34:35]
	ds_write_b128 v137, v[4:7] offset:4032
	ds_write_b128 v137, v[20:23] offset:1344
	;; [unrolled: 1-line block ×5, first 2 shown]
	ds_write_b128 v138, v[28:31]
	ds_write_b128 v137, v[24:27] offset:672
	ds_write_b128 v137, v[0:3] offset:4704
.LBB0_22:
	s_or_b32 exec_lo, exec_lo, s8
	s_waitcnt lgkmcnt(0)
	s_barrier
	buffer_gl0_inv
	s_and_saveexec_b32 s8, s10
	s_cbranch_execz .LBB0_24
; %bb.23:
	v_mad_u64_u32 v[8:9], null, s0, v133, 0
	v_mad_u64_u32 v[0:1], null, s2, v134, 0
	;; [unrolled: 1-line block ×3, first 2 shown]
	v_add3_u32 v25, 0, v136, v135
	v_mad_u64_u32 v[12:13], null, s0, v132, 0
	v_mov_b32_e32 v2, v9
	v_mad_u64_u32 v[18:19], null, s0, v128, 0
	v_mad_u64_u32 v[3:4], null, s3, v134, v[1:2]
	s_lshl_b64 s[2:3], s[6:7], 4
	s_add_u32 s2, s4, s2
	s_addc_u32 s3, s5, s3
	v_mad_u64_u32 v[4:5], null, s1, v133, v[2:3]
	v_mov_b32_e32 v2, v11
	v_mov_b32_e32 v1, v3
	v_mad_u64_u32 v[14:15], null, s1, v131, v[2:3]
	v_mov_b32_e32 v9, v4
	v_lshlrev_b64 v[15:16], 4, v[0:1]
	ds_read_b128 v[0:3], v25
	ds_read_b128 v[4:7], v25 offset:896
	v_lshlrev_b64 v[8:9], 4, v[8:9]
	v_mov_b32_e32 v11, v14
	v_add_co_u32 v26, vcc_lo, s2, v15
	v_add_co_ci_u32_e32 v27, vcc_lo, s3, v16, vcc_lo
	v_lshlrev_b64 v[10:11], 4, v[10:11]
	v_add_co_u32 v8, vcc_lo, v26, v8
	v_mad_u64_u32 v[13:14], null, s1, v132, v[13:14]
	v_mad_u64_u32 v[14:15], null, s0, v129, 0
	;; [unrolled: 1-line block ×3, first 2 shown]
	v_add_co_ci_u32_e32 v9, vcc_lo, v27, v9, vcc_lo
	v_add_co_u32 v10, vcc_lo, v26, v10
	v_add_co_ci_u32_e32 v11, vcc_lo, v27, v11, vcc_lo
	s_waitcnt lgkmcnt(1)
	global_store_dwordx4 v[8:9], v[0:3], off
	s_waitcnt lgkmcnt(0)
	global_store_dwordx4 v[10:11], v[4:7], off
	v_mov_b32_e32 v0, v15
	v_mov_b32_e32 v1, v17
	v_lshlrev_b64 v[2:3], 4, v[12:13]
	v_mad_u64_u32 v[4:5], null, s1, v129, v[0:1]
	v_mad_u64_u32 v[0:1], null, s1, v130, v[1:2]
	v_mov_b32_e32 v1, v19
	v_add_co_u32 v20, vcc_lo, v26, v2
	v_add_co_ci_u32_e32 v21, vcc_lo, v27, v3, vcc_lo
	v_mov_b32_e32 v15, v4
	v_mad_u64_u32 v[22:23], null, s1, v128, v[1:2]
	v_mov_b32_e32 v17, v0
	ds_read_b128 v[0:3], v25 offset:1792
	ds_read_b128 v[4:7], v25 offset:2688
	v_lshlrev_b64 v[23:24], 4, v[14:15]
	ds_read_b128 v[8:11], v25 offset:3584
	ds_read_b128 v[12:15], v25 offset:4480
	v_lshlrev_b64 v[16:17], 4, v[16:17]
	v_mov_b32_e32 v19, v22
	v_add_co_u32 v22, vcc_lo, v26, v23
	v_add_co_ci_u32_e32 v23, vcc_lo, v27, v24, vcc_lo
	v_lshlrev_b64 v[18:19], 4, v[18:19]
	v_add_co_u32 v16, vcc_lo, v26, v16
	v_add_co_ci_u32_e32 v17, vcc_lo, v27, v17, vcc_lo
	v_add_co_u32 v18, vcc_lo, v26, v18
	v_add_co_ci_u32_e32 v19, vcc_lo, v27, v19, vcc_lo
	s_waitcnt lgkmcnt(3)
	global_store_dwordx4 v[20:21], v[0:3], off
	s_waitcnt lgkmcnt(2)
	global_store_dwordx4 v[22:23], v[4:7], off
	;; [unrolled: 2-line block ×4, first 2 shown]
.LBB0_24:
	s_endpgm
	.section	.rodata,"a",@progbits
	.p2align	6, 0x0
	.amdhsa_kernel fft_rtc_back_len336_factors_6_7_8_wgs_336_tpt_56_dp_ip_CI_sbcc_twdbase8_3step
		.amdhsa_group_segment_fixed_size 0
		.amdhsa_private_segment_fixed_size 0
		.amdhsa_kernarg_size 96
		.amdhsa_user_sgpr_count 6
		.amdhsa_user_sgpr_private_segment_buffer 1
		.amdhsa_user_sgpr_dispatch_ptr 0
		.amdhsa_user_sgpr_queue_ptr 0
		.amdhsa_user_sgpr_kernarg_segment_ptr 1
		.amdhsa_user_sgpr_dispatch_id 0
		.amdhsa_user_sgpr_flat_scratch_init 0
		.amdhsa_user_sgpr_private_segment_size 0
		.amdhsa_wavefront_size32 1
		.amdhsa_uses_dynamic_stack 0
		.amdhsa_system_sgpr_private_segment_wavefront_offset 0
		.amdhsa_system_sgpr_workgroup_id_x 1
		.amdhsa_system_sgpr_workgroup_id_y 0
		.amdhsa_system_sgpr_workgroup_id_z 0
		.amdhsa_system_sgpr_workgroup_info 0
		.amdhsa_system_vgpr_workitem_id 0
		.amdhsa_next_free_vgpr 163
		.amdhsa_next_free_sgpr 46
		.amdhsa_reserve_vcc 1
		.amdhsa_reserve_flat_scratch 0
		.amdhsa_float_round_mode_32 0
		.amdhsa_float_round_mode_16_64 0
		.amdhsa_float_denorm_mode_32 3
		.amdhsa_float_denorm_mode_16_64 3
		.amdhsa_dx10_clamp 1
		.amdhsa_ieee_mode 1
		.amdhsa_fp16_overflow 0
		.amdhsa_workgroup_processor_mode 1
		.amdhsa_memory_ordered 1
		.amdhsa_forward_progress 0
		.amdhsa_shared_vgpr_count 0
		.amdhsa_exception_fp_ieee_invalid_op 0
		.amdhsa_exception_fp_denorm_src 0
		.amdhsa_exception_fp_ieee_div_zero 0
		.amdhsa_exception_fp_ieee_overflow 0
		.amdhsa_exception_fp_ieee_underflow 0
		.amdhsa_exception_fp_ieee_inexact 0
		.amdhsa_exception_int_div_zero 0
	.end_amdhsa_kernel
	.text
.Lfunc_end0:
	.size	fft_rtc_back_len336_factors_6_7_8_wgs_336_tpt_56_dp_ip_CI_sbcc_twdbase8_3step, .Lfunc_end0-fft_rtc_back_len336_factors_6_7_8_wgs_336_tpt_56_dp_ip_CI_sbcc_twdbase8_3step
                                        ; -- End function
	.section	.AMDGPU.csdata,"",@progbits
; Kernel info:
; codeLenInByte = 7260
; NumSgprs: 48
; NumVgprs: 163
; ScratchSize: 0
; MemoryBound: 0
; FloatMode: 240
; IeeeMode: 1
; LDSByteSize: 0 bytes/workgroup (compile time only)
; SGPRBlocks: 5
; VGPRBlocks: 20
; NumSGPRsForWavesPerEU: 48
; NumVGPRsForWavesPerEU: 163
; Occupancy: 5
; WaveLimiterHint : 1
; COMPUTE_PGM_RSRC2:SCRATCH_EN: 0
; COMPUTE_PGM_RSRC2:USER_SGPR: 6
; COMPUTE_PGM_RSRC2:TRAP_HANDLER: 0
; COMPUTE_PGM_RSRC2:TGID_X_EN: 1
; COMPUTE_PGM_RSRC2:TGID_Y_EN: 0
; COMPUTE_PGM_RSRC2:TGID_Z_EN: 0
; COMPUTE_PGM_RSRC2:TIDIG_COMP_CNT: 0
	.text
	.p2alignl 6, 3214868480
	.fill 48, 4, 3214868480
	.type	__hip_cuid_f8d57bddc9b62d56,@object ; @__hip_cuid_f8d57bddc9b62d56
	.section	.bss,"aw",@nobits
	.globl	__hip_cuid_f8d57bddc9b62d56
__hip_cuid_f8d57bddc9b62d56:
	.byte	0                               ; 0x0
	.size	__hip_cuid_f8d57bddc9b62d56, 1

	.ident	"AMD clang version 19.0.0git (https://github.com/RadeonOpenCompute/llvm-project roc-6.4.0 25133 c7fe45cf4b819c5991fe208aaa96edf142730f1d)"
	.section	".note.GNU-stack","",@progbits
	.addrsig
	.addrsig_sym __hip_cuid_f8d57bddc9b62d56
	.amdgpu_metadata
---
amdhsa.kernels:
  - .args:
      - .actual_access:  read_only
        .address_space:  global
        .offset:         0
        .size:           8
        .value_kind:     global_buffer
      - .address_space:  global
        .offset:         8
        .size:           8
        .value_kind:     global_buffer
      - .offset:         16
        .size:           8
        .value_kind:     by_value
      - .actual_access:  read_only
        .address_space:  global
        .offset:         24
        .size:           8
        .value_kind:     global_buffer
      - .actual_access:  read_only
        .address_space:  global
        .offset:         32
        .size:           8
        .value_kind:     global_buffer
      - .offset:         40
        .size:           8
        .value_kind:     by_value
      - .actual_access:  read_only
        .address_space:  global
        .offset:         48
        .size:           8
        .value_kind:     global_buffer
      - .actual_access:  read_only
        .address_space:  global
        .offset:         56
        .size:           8
        .value_kind:     global_buffer
      - .offset:         64
        .size:           4
        .value_kind:     by_value
      - .actual_access:  read_only
        .address_space:  global
        .offset:         72
        .size:           8
        .value_kind:     global_buffer
      - .actual_access:  read_only
        .address_space:  global
        .offset:         80
        .size:           8
        .value_kind:     global_buffer
      - .address_space:  global
        .offset:         88
        .size:           8
        .value_kind:     global_buffer
    .group_segment_fixed_size: 0
    .kernarg_segment_align: 8
    .kernarg_segment_size: 96
    .language:       OpenCL C
    .language_version:
      - 2
      - 0
    .max_flat_workgroup_size: 336
    .name:           fft_rtc_back_len336_factors_6_7_8_wgs_336_tpt_56_dp_ip_CI_sbcc_twdbase8_3step
    .private_segment_fixed_size: 0
    .sgpr_count:     48
    .sgpr_spill_count: 0
    .symbol:         fft_rtc_back_len336_factors_6_7_8_wgs_336_tpt_56_dp_ip_CI_sbcc_twdbase8_3step.kd
    .uniform_work_group_size: 1
    .uses_dynamic_stack: false
    .vgpr_count:     163
    .vgpr_spill_count: 0
    .wavefront_size: 32
    .workgroup_processor_mode: 1
amdhsa.target:   amdgcn-amd-amdhsa--gfx1030
amdhsa.version:
  - 1
  - 2
...

	.end_amdgpu_metadata
